;; amdgpu-corpus repo=zjin-lcf/HeCBench kind=compiled arch=gfx1030 opt=O3
	.amdgcn_target "amdgcn-amd-amdhsa--gfx1030"
	.amdhsa_code_object_version 6
	.text
	.protected	_Z14rainflow_countPKdPKiPdPiP15HIP_vector_typeIdLj3EES4_i ; -- Begin function _Z14rainflow_countPKdPKiPdPiP15HIP_vector_typeIdLj3EES4_i
	.globl	_Z14rainflow_countPKdPKiPdPiP15HIP_vector_typeIdLj3EES4_i
	.p2align	8
	.type	_Z14rainflow_countPKdPKiPdPiP15HIP_vector_typeIdLj3EES4_i,@function
_Z14rainflow_countPKdPKiPdPiP15HIP_vector_typeIdLj3EES4_i: ; @_Z14rainflow_countPKdPKiPdPiP15HIP_vector_typeIdLj3EES4_i
; %bb.0:
	s_clause 0x1
	s_load_dword s0, s[4:5], 0x44
	s_load_dword s1, s[4:5], 0x30
	s_waitcnt lgkmcnt(0)
	s_and_b32 s0, s0, 0xffff
	v_mad_u64_u32 v[0:1], null, s6, s0, v[0:1]
	s_mov_b32 s0, exec_lo
	v_cmpx_gt_i32_e64 s1, v0
	s_cbranch_execz .LBB0_32
; %bb.1:
	s_load_dwordx8 s[8:15], s[4:5], 0x0
	v_ashrrev_i32_e32 v1, 31, v0
	s_load_dwordx4 s[4:7], s[4:5], 0x20
	v_mov_b32_e32 v10, 0
	s_mov_b32 s1, exec_lo
	v_lshlrev_b64 v[4:5], 2, v[0:1]
	s_waitcnt lgkmcnt(0)
	v_add_co_u32 v0, vcc_lo, s10, v4
	v_add_co_ci_u32_e64 v1, null, s11, v5, vcc_lo
	global_load_dwordx2 v[2:3], v[0:1], off
	s_waitcnt vmcnt(0)
	v_ashrrev_i32_e32 v9, 31, v2
	v_mov_b32_e32 v8, v2
	v_sub_nc_u32_e32 v17, v3, v2
	v_lshlrev_b64 v[6:7], 3, v[8:9]
	v_add_co_u32 v0, vcc_lo, s8, v6
	v_add_co_ci_u32_e64 v1, null, s9, v7, vcc_lo
	v_add_co_u32 v6, vcc_lo, s12, v6
	v_add_co_ci_u32_e64 v7, null, s13, v7, vcc_lo
	global_load_dwordx2 v[11:12], v[0:1], off
	s_waitcnt vmcnt(0)
	global_store_dwordx2 v[6:7], v[11:12], off
	v_cmpx_lt_i32_e32 2, v17
	s_cbranch_execz .LBB0_13
; %bb.2:
	v_sub_nc_u32_e32 v10, v3, v8
	v_add_co_u32 v2, vcc_lo, v0, 16
	v_add_co_ci_u32_e64 v3, null, 0, v1, vcc_lo
	v_add_nc_u32_e32 v18, -2, v10
	v_mov_b32_e32 v10, 0
	s_mov_b32 s2, 0
	s_branch .LBB0_4
.LBB0_3:                                ;   in Loop: Header=BB0_4 Depth=1
	s_or_b32 exec_lo, exec_lo, s3
	v_add_nc_u32_e32 v18, -1, v18
	v_add_co_u32 v2, s0, v2, 8
	v_add_co_ci_u32_e64 v3, null, 0, v3, s0
	v_cmp_eq_u32_e32 vcc_lo, 0, v18
	s_or_b32 s2, vcc_lo, s2
	s_andn2_b32 exec_lo, exec_lo, s2
	s_cbranch_execz .LBB0_12
.LBB0_4:                                ; =>This Inner Loop Header: Depth=1
	v_ashrrev_i32_e32 v11, 31, v10
	s_mov_b32 s0, 0
	s_mov_b32 s3, exec_lo
	v_lshlrev_b64 v[11:12], 3, v[10:11]
	v_add_co_u32 v11, vcc_lo, v6, v11
	v_add_co_ci_u32_e64 v12, null, v7, v12, vcc_lo
	global_load_dwordx2 v[13:14], v[2:3], off offset:-8
	global_load_dwordx2 v[15:16], v[11:12], off
	s_waitcnt vmcnt(0)
	v_cmp_ngt_f64_e64 s8, v[13:14], v[15:16]
	v_cmpx_gt_f64_e32 v[13:14], v[15:16]
	s_cbranch_execnz .LBB0_7
; %bb.5:                                ;   in Loop: Header=BB0_4 Depth=1
	s_or_b32 exec_lo, exec_lo, s3
	s_and_saveexec_b32 s3, s8
	s_cbranch_execnz .LBB0_8
.LBB0_6:                                ;   in Loop: Header=BB0_4 Depth=1
	s_or_b32 exec_lo, exec_lo, s3
	s_and_saveexec_b32 s3, s0
	s_cbranch_execz .LBB0_3
	s_branch .LBB0_11
.LBB0_7:                                ;   in Loop: Header=BB0_4 Depth=1
	global_load_dwordx2 v[19:20], v[2:3], off
	s_andn2_b32 s8, s8, exec_lo
	s_mov_b32 s0, exec_lo
	s_waitcnt vmcnt(0)
	v_cmp_ngt_f64_e32 vcc_lo, v[13:14], v[19:20]
	s_and_b32 s9, vcc_lo, exec_lo
	s_or_b32 s8, s8, s9
	s_or_b32 exec_lo, exec_lo, s3
	s_and_saveexec_b32 s3, s8
	s_cbranch_execz .LBB0_6
.LBB0_8:                                ;   in Loop: Header=BB0_4 Depth=1
	s_mov_b32 s8, 0
	s_mov_b32 s9, exec_lo
	v_cmpx_lt_f64_e32 v[13:14], v[15:16]
	s_cbranch_execz .LBB0_10
; %bb.9:                                ;   in Loop: Header=BB0_4 Depth=1
	global_load_dwordx2 v[15:16], v[2:3], off
	s_waitcnt vmcnt(0)
	v_cmp_lt_f64_e32 vcc_lo, v[13:14], v[15:16]
	s_and_b32 s8, vcc_lo, exec_lo
.LBB0_10:                               ;   in Loop: Header=BB0_4 Depth=1
	s_or_b32 exec_lo, exec_lo, s9
	s_andn2_b32 s0, s0, exec_lo
	s_and_b32 s8, s8, exec_lo
	s_or_b32 s0, s0, s8
	s_or_b32 exec_lo, exec_lo, s3
	s_and_saveexec_b32 s3, s0
	s_cbranch_execz .LBB0_3
.LBB0_11:                               ;   in Loop: Header=BB0_4 Depth=1
	v_add_nc_u32_e32 v10, 1, v10
	global_store_dwordx2 v[11:12], v[13:14], off offset:8
	s_branch .LBB0_3
.LBB0_12:
	s_or_b32 exec_lo, exec_lo, s2
.LBB0_13:
	s_or_b32 exec_lo, exec_lo, s1
	v_add_nc_u32_e32 v2, -1, v17
	v_ashrrev_i32_e32 v11, 31, v10
	v_mov_b32_e32 v25, -1
	s_mov_b32 s1, exec_lo
	v_ashrrev_i32_e32 v3, 31, v2
	v_lshlrev_b64 v[15:16], 3, v[10:11]
	v_mov_b32_e32 v11, -1
	v_lshlrev_b64 v[2:3], 3, v[2:3]
	v_add_co_u32 v0, vcc_lo, v0, v2
	v_add_co_ci_u32_e64 v1, null, v1, v3, vcc_lo
	v_lshlrev_b64 v[2:3], 2, v[8:9]
	global_load_dwordx2 v[0:1], v[0:1], off
	v_add_co_u32 v13, vcc_lo, s14, v2
	v_add_co_ci_u32_e64 v14, null, s15, v3, vcc_lo
	v_add_co_u32 v2, vcc_lo, v6, v15
	v_add_co_ci_u32_e64 v3, null, v7, v16, vcc_lo
	s_waitcnt vmcnt(0)
	global_store_dwordx2 v[2:3], v[0:1], off offset:8
	v_cmpx_lt_i32_e32 -2, v10
	s_cbranch_execz .LBB0_27
; %bb.14:
	v_mad_i64_i32 v[0:1], null, v8, 24, s[4:5]
	v_mov_b32_e32 v11, -1
	v_mov_b32_e32 v12, 0
	s_mov_b32 s2, 0
	s_mov_b32 s3, -1
	v_mov_b32_e32 v25, v11
	v_add_co_u32 v15, vcc_lo, v0, 24
	v_add_co_ci_u32_e64 v16, null, 0, v1, vcc_lo
	s_branch .LBB0_17
.LBB0_15:                               ;   in Loop: Header=BB0_17 Depth=1
	s_or_b32 exec_lo, exec_lo, s10
.LBB0_16:                               ;   in Loop: Header=BB0_17 Depth=1
	s_or_b32 exec_lo, exec_lo, s9
	v_cmp_eq_u32_e32 vcc_lo, s3, v10
	s_mov_b32 s3, s8
	s_or_b32 s2, vcc_lo, s2
	s_andn2_b32 exec_lo, exec_lo, s2
	s_cbranch_execz .LBB0_26
.LBB0_17:                               ; =>This Loop Header: Depth=1
                                        ;     Child Loop BB0_21 Depth 2
	v_mov_b32_e32 v0, v11
	s_add_i32 s8, s3, 1
	s_mov_b32 s9, exec_lo
	v_mov_b32_e32 v3, s8
	v_ashrrev_i32_e32 v1, 31, v0
	v_add_nc_u32_e32 v11, 1, v0
	v_lshlrev_b64 v[1:2], 2, v[0:1]
	v_add_co_u32 v1, vcc_lo, v13, v1
	v_add_co_ci_u32_e64 v2, null, v14, v2, vcc_lo
	global_store_dword v[1:2], v3, off offset:4
	v_cmpx_lt_i32_e32 0, v0
	s_cbranch_execz .LBB0_16
; %bb.18:                               ;   in Loop: Header=BB0_17 Depth=1
	v_mad_i64_i32 v[17:18], null, v25, 24, v[15:16]
	s_mov_b32 s10, 0
                                        ; implicit-def: $sgpr0
	s_branch .LBB0_21
.LBB0_19:                               ;   in Loop: Header=BB0_21 Depth=2
	s_or_b32 exec_lo, exec_lo, s12
	v_add_f64 v[20:21], v[20:21], v[22:23]
	v_and_b32_e32 v3, 0x7fffffff, v3
	v_cmp_gt_i32_e32 vcc_lo, 2, v19
	s_andn2_b32 s12, s0, exec_lo
	v_add_nc_u32_e32 v25, 1, v25
	v_mov_b32_e32 v11, v19
	v_mul_f64 v[20:21], v[20:21], 0.5
	global_store_dwordx4 v[17:18], v[0:3], off
	global_store_dwordx2 v[17:18], v[20:21], off offset:16
	v_add_co_u32 v17, s0, v17, 24
	v_add_co_ci_u32_e64 v18, null, 0, v18, s0
	s_and_b32 s0, vcc_lo, exec_lo
	s_or_b32 s0, s12, s0
.LBB0_20:                               ;   in Loop: Header=BB0_21 Depth=2
	s_or_b32 exec_lo, exec_lo, s11
	s_and_b32 s11, exec_lo, s0
	s_or_b32 s10, s11, s10
	s_andn2_b32 exec_lo, exec_lo, s10
	s_cbranch_execz .LBB0_15
.LBB0_21:                               ;   Parent Loop BB0_17 Depth=1
                                        ; =>  This Inner Loop Header: Depth=2
	v_add_nc_u32_e32 v19, -2, v11
	v_mov_b32_e32 v20, v12
	v_lshlrev_b64 v[0:1], 2, v[11:12]
	s_or_b32 s0, s0, exec_lo
	s_mov_b32 s11, exec_lo
	v_lshlrev_b64 v[2:3], 2, v[19:20]
	v_add_co_u32 v20, vcc_lo, v13, v0
	v_add_co_ci_u32_e64 v21, null, v14, v1, vcc_lo
	v_add_co_u32 v0, vcc_lo, v13, v2
	v_add_co_ci_u32_e64 v1, null, v14, v3, vcc_lo
	s_clause 0x1
	global_load_dwordx2 v[23:24], v[20:21], off offset:-4
	global_load_dword v2, v[0:1], off
	s_waitcnt vmcnt(1)
	v_ashrrev_i32_e32 v21, 31, v23
	v_mov_b32_e32 v20, v23
	v_ashrrev_i32_e32 v23, 31, v24
	v_mov_b32_e32 v22, v24
	s_waitcnt vmcnt(0)
	v_ashrrev_i32_e32 v3, 31, v2
	v_lshlrev_b64 v[20:21], 3, v[20:21]
	v_lshlrev_b64 v[22:23], 3, v[22:23]
	;; [unrolled: 1-line block ×3, first 2 shown]
	v_add_co_u32 v20, vcc_lo, v6, v20
	v_add_co_ci_u32_e64 v21, null, v7, v21, vcc_lo
	v_add_co_u32 v22, vcc_lo, v6, v22
	v_add_co_ci_u32_e64 v23, null, v7, v23, vcc_lo
	;; [unrolled: 2-line block ×3, first 2 shown]
	s_clause 0x2
	global_load_dwordx2 v[20:21], v[20:21], off
	global_load_dwordx2 v[26:27], v[22:23], off
	;; [unrolled: 1-line block ×3, first 2 shown]
	s_waitcnt vmcnt(1)
	v_add_f64 v[26:27], v[20:21], -v[26:27]
	s_waitcnt vmcnt(0)
	v_add_f64 v[2:3], v[22:23], -v[20:21]
	v_cmpx_ge_f64_e64 |v[26:27]|, |v[2:3]|
	s_cbranch_execz .LBB0_20
; %bb.22:                               ;   in Loop: Header=BB0_21 Depth=2
	s_mov_b32 s12, exec_lo
	v_cmpx_ne_u32_e32 2, v11
	s_xor_b32 s12, exec_lo, s12
	s_cbranch_execz .LBB0_24
; %bb.23:                               ;   in Loop: Header=BB0_21 Depth=2
	global_store_dword v[0:1], v24, off
.LBB0_24:                               ;   in Loop: Header=BB0_21 Depth=2
	s_or_saveexec_b32 s12, s12
	v_mov_b32_e32 v0, 0
	v_mov_b32_e32 v1, 0x3ff00000
	s_xor_b32 exec_lo, exec_lo, s12
	s_cbranch_execz .LBB0_19
; %bb.25:                               ;   in Loop: Header=BB0_21 Depth=2
	global_load_dwordx2 v[26:27], v[13:14], off offset:4
	v_mov_b32_e32 v0, 0
	v_mov_b32_e32 v1, 0x3fe00000
	;; [unrolled: 1-line block ×3, first 2 shown]
	s_waitcnt vmcnt(0)
	global_store_dwordx2 v[13:14], v[26:27], off
	s_branch .LBB0_19
.LBB0_26:
	s_or_b32 exec_lo, exec_lo, s2
.LBB0_27:
	s_or_b32 exec_lo, exec_lo, s1
	s_mov_b32 s2, 0
	s_mov_b32 s1, exec_lo
	v_cmpx_lt_i32_e32 0, v11
	s_cbranch_execz .LBB0_31
; %bb.28:
	global_load_dword v0, v[13:14], off
	s_waitcnt vmcnt(0)
	v_ashrrev_i32_e32 v1, 31, v0
	v_lshlrev_b64 v[0:1], 3, v[0:1]
	v_add_co_u32 v0, vcc_lo, v6, v0
	v_add_co_ci_u32_e64 v1, null, v7, v1, vcc_lo
	global_load_dwordx2 v[15:16], v[0:1], off
	v_mad_i64_i32 v[0:1], null, v25, 24, 0
	v_add_nc_u32_e32 v25, v11, v25
	v_mad_i64_i32 v[0:1], null, v8, 24, v[0:1]
	v_add_co_u32 v0, vcc_lo, s4, v0
	v_add_co_ci_u32_e64 v1, null, s5, v1, vcc_lo
	v_add_co_u32 v8, vcc_lo, v0, 24
	v_add_co_ci_u32_e64 v9, null, 0, v1, vcc_lo
	;; [unrolled: 2-line block ×3, first 2 shown]
	v_mov_b32_e32 v0, 0
	v_mov_b32_e32 v1, 0x3fe00000
	s_inst_prefetch 0x1
	.p2align	6
.LBB0_29:                               ; =>This Inner Loop Header: Depth=1
	global_load_dword v2, v[12:13], off
	v_add_nc_u32_e32 v11, -1, v11
	s_waitcnt vmcnt(0)
	v_ashrrev_i32_e32 v3, 31, v2
	v_lshlrev_b64 v[2:3], 3, v[2:3]
	v_add_co_u32 v2, vcc_lo, v6, v2
	v_add_co_ci_u32_e64 v3, null, v7, v3, vcc_lo
	v_add_co_u32 v12, vcc_lo, v12, 4
	v_add_co_ci_u32_e64 v13, null, 0, v13, vcc_lo
	global_load_dwordx2 v[17:18], v[2:3], off
	v_cmp_eq_u32_e32 vcc_lo, 0, v11
	s_or_b32 s2, vcc_lo, s2
	s_waitcnt vmcnt(0)
	v_add_f64 v[19:20], v[15:16], v[17:18]
	v_add_f64 v[2:3], v[15:16], -v[17:18]
	v_mov_b32_e32 v15, v17
	v_mov_b32_e32 v16, v18
	v_mul_f64 v[19:20], v[19:20], 0.5
	v_and_b32_e32 v3, 0x7fffffff, v3
	global_store_dwordx4 v[8:9], v[0:3], off
	global_store_dwordx2 v[8:9], v[19:20], off offset:16
	v_add_co_u32 v8, s0, v8, 24
	v_add_co_ci_u32_e64 v9, null, 0, v9, s0
	s_andn2_b32 exec_lo, exec_lo, s2
	s_cbranch_execnz .LBB0_29
; %bb.30:
	s_inst_prefetch 0x2
	s_or_b32 exec_lo, exec_lo, s2
.LBB0_31:
	s_or_b32 exec_lo, exec_lo, s1
	v_add_co_u32 v0, vcc_lo, s6, v4
	v_add_co_ci_u32_e64 v1, null, s7, v5, vcc_lo
	v_add_nc_u32_e32 v2, 1, v25
	global_store_dword v[0:1], v2, off
.LBB0_32:
	s_endpgm
	.section	.rodata,"a",@progbits
	.p2align	6, 0x0
	.amdhsa_kernel _Z14rainflow_countPKdPKiPdPiP15HIP_vector_typeIdLj3EES4_i
		.amdhsa_group_segment_fixed_size 0
		.amdhsa_private_segment_fixed_size 0
		.amdhsa_kernarg_size 312
		.amdhsa_user_sgpr_count 6
		.amdhsa_user_sgpr_private_segment_buffer 1
		.amdhsa_user_sgpr_dispatch_ptr 0
		.amdhsa_user_sgpr_queue_ptr 0
		.amdhsa_user_sgpr_kernarg_segment_ptr 1
		.amdhsa_user_sgpr_dispatch_id 0
		.amdhsa_user_sgpr_flat_scratch_init 0
		.amdhsa_user_sgpr_private_segment_size 0
		.amdhsa_wavefront_size32 1
		.amdhsa_uses_dynamic_stack 0
		.amdhsa_system_sgpr_private_segment_wavefront_offset 0
		.amdhsa_system_sgpr_workgroup_id_x 1
		.amdhsa_system_sgpr_workgroup_id_y 0
		.amdhsa_system_sgpr_workgroup_id_z 0
		.amdhsa_system_sgpr_workgroup_info 0
		.amdhsa_system_vgpr_workitem_id 0
		.amdhsa_next_free_vgpr 28
		.amdhsa_next_free_sgpr 16
		.amdhsa_reserve_vcc 1
		.amdhsa_reserve_flat_scratch 0
		.amdhsa_float_round_mode_32 0
		.amdhsa_float_round_mode_16_64 0
		.amdhsa_float_denorm_mode_32 3
		.amdhsa_float_denorm_mode_16_64 3
		.amdhsa_dx10_clamp 1
		.amdhsa_ieee_mode 1
		.amdhsa_fp16_overflow 0
		.amdhsa_workgroup_processor_mode 1
		.amdhsa_memory_ordered 1
		.amdhsa_forward_progress 1
		.amdhsa_shared_vgpr_count 0
		.amdhsa_exception_fp_ieee_invalid_op 0
		.amdhsa_exception_fp_denorm_src 0
		.amdhsa_exception_fp_ieee_div_zero 0
		.amdhsa_exception_fp_ieee_overflow 0
		.amdhsa_exception_fp_ieee_underflow 0
		.amdhsa_exception_fp_ieee_inexact 0
		.amdhsa_exception_int_div_zero 0
	.end_amdhsa_kernel
	.text
.Lfunc_end0:
	.size	_Z14rainflow_countPKdPKiPdPiP15HIP_vector_typeIdLj3EES4_i, .Lfunc_end0-_Z14rainflow_countPKdPKiPdPiP15HIP_vector_typeIdLj3EES4_i
                                        ; -- End function
	.set _Z14rainflow_countPKdPKiPdPiP15HIP_vector_typeIdLj3EES4_i.num_vgpr, 28
	.set _Z14rainflow_countPKdPKiPdPiP15HIP_vector_typeIdLj3EES4_i.num_agpr, 0
	.set _Z14rainflow_countPKdPKiPdPiP15HIP_vector_typeIdLj3EES4_i.numbered_sgpr, 16
	.set _Z14rainflow_countPKdPKiPdPiP15HIP_vector_typeIdLj3EES4_i.num_named_barrier, 0
	.set _Z14rainflow_countPKdPKiPdPiP15HIP_vector_typeIdLj3EES4_i.private_seg_size, 0
	.set _Z14rainflow_countPKdPKiPdPiP15HIP_vector_typeIdLj3EES4_i.uses_vcc, 1
	.set _Z14rainflow_countPKdPKiPdPiP15HIP_vector_typeIdLj3EES4_i.uses_flat_scratch, 0
	.set _Z14rainflow_countPKdPKiPdPiP15HIP_vector_typeIdLj3EES4_i.has_dyn_sized_stack, 0
	.set _Z14rainflow_countPKdPKiPdPiP15HIP_vector_typeIdLj3EES4_i.has_recursion, 0
	.set _Z14rainflow_countPKdPKiPdPiP15HIP_vector_typeIdLj3EES4_i.has_indirect_call, 0
	.section	.AMDGPU.csdata,"",@progbits
; Kernel info:
; codeLenInByte = 1612
; TotalNumSgprs: 18
; NumVgprs: 28
; ScratchSize: 0
; MemoryBound: 1
; FloatMode: 240
; IeeeMode: 1
; LDSByteSize: 0 bytes/workgroup (compile time only)
; SGPRBlocks: 0
; VGPRBlocks: 3
; NumSGPRsForWavesPerEU: 18
; NumVGPRsForWavesPerEU: 28
; Occupancy: 16
; WaveLimiterHint : 1
; COMPUTE_PGM_RSRC2:SCRATCH_EN: 0
; COMPUTE_PGM_RSRC2:USER_SGPR: 6
; COMPUTE_PGM_RSRC2:TRAP_HANDLER: 0
; COMPUTE_PGM_RSRC2:TGID_X_EN: 1
; COMPUTE_PGM_RSRC2:TGID_Y_EN: 0
; COMPUTE_PGM_RSRC2:TGID_Z_EN: 0
; COMPUTE_PGM_RSRC2:TIDIG_COMP_CNT: 0
	.text
	.p2alignl 6, 3214868480
	.fill 48, 4, 3214868480
	.section	.AMDGPU.gpr_maximums,"",@progbits
	.set amdgpu.max_num_vgpr, 0
	.set amdgpu.max_num_agpr, 0
	.set amdgpu.max_num_sgpr, 0
	.text
	.type	__hip_cuid_665a9eadbda38209,@object ; @__hip_cuid_665a9eadbda38209
	.section	.bss,"aw",@nobits
	.globl	__hip_cuid_665a9eadbda38209
__hip_cuid_665a9eadbda38209:
	.byte	0                               ; 0x0
	.size	__hip_cuid_665a9eadbda38209, 1

	.ident	"AMD clang version 22.0.0git (https://github.com/RadeonOpenCompute/llvm-project roc-7.2.4 26084 f58b06dce1f9c15707c5f808fd002e18c2accf7e)"
	.section	".note.GNU-stack","",@progbits
	.addrsig
	.addrsig_sym __hip_cuid_665a9eadbda38209
	.amdgpu_metadata
---
amdhsa.kernels:
  - .args:
      - .actual_access:  read_only
        .address_space:  global
        .offset:         0
        .size:           8
        .value_kind:     global_buffer
      - .actual_access:  read_only
        .address_space:  global
        .offset:         8
        .size:           8
        .value_kind:     global_buffer
      - .address_space:  global
        .offset:         16
        .size:           8
        .value_kind:     global_buffer
      - .address_space:  global
        .offset:         24
        .size:           8
        .value_kind:     global_buffer
      - .actual_access:  write_only
        .address_space:  global
        .offset:         32
        .size:           8
        .value_kind:     global_buffer
      - .actual_access:  write_only
        .address_space:  global
        .offset:         40
        .size:           8
        .value_kind:     global_buffer
      - .offset:         48
        .size:           4
        .value_kind:     by_value
      - .offset:         56
        .size:           4
        .value_kind:     hidden_block_count_x
      - .offset:         60
        .size:           4
        .value_kind:     hidden_block_count_y
      - .offset:         64
        .size:           4
        .value_kind:     hidden_block_count_z
      - .offset:         68
        .size:           2
        .value_kind:     hidden_group_size_x
      - .offset:         70
        .size:           2
        .value_kind:     hidden_group_size_y
      - .offset:         72
        .size:           2
        .value_kind:     hidden_group_size_z
      - .offset:         74
        .size:           2
        .value_kind:     hidden_remainder_x
      - .offset:         76
        .size:           2
        .value_kind:     hidden_remainder_y
      - .offset:         78
        .size:           2
        .value_kind:     hidden_remainder_z
      - .offset:         96
        .size:           8
        .value_kind:     hidden_global_offset_x
      - .offset:         104
        .size:           8
        .value_kind:     hidden_global_offset_y
      - .offset:         112
        .size:           8
        .value_kind:     hidden_global_offset_z
      - .offset:         120
        .size:           2
        .value_kind:     hidden_grid_dims
    .group_segment_fixed_size: 0
    .kernarg_segment_align: 8
    .kernarg_segment_size: 312
    .language:       OpenCL C
    .language_version:
      - 2
      - 0
    .max_flat_workgroup_size: 1024
    .name:           _Z14rainflow_countPKdPKiPdPiP15HIP_vector_typeIdLj3EES4_i
    .private_segment_fixed_size: 0
    .sgpr_count:     18
    .sgpr_spill_count: 0
    .symbol:         _Z14rainflow_countPKdPKiPdPiP15HIP_vector_typeIdLj3EES4_i.kd
    .uniform_work_group_size: 1
    .uses_dynamic_stack: false
    .vgpr_count:     28
    .vgpr_spill_count: 0
    .wavefront_size: 32
    .workgroup_processor_mode: 1
amdhsa.target:   amdgcn-amd-amdhsa--gfx1030
amdhsa.version:
  - 1
  - 2
...

	.end_amdgpu_metadata
